;; amdgpu-corpus repo=zjin-lcf/HeCBench kind=compiled arch=gfx906 opt=O3
	.amdgcn_target "amdgcn-amd-amdhsa--gfx906"
	.amdhsa_code_object_version 6
	.text
	.protected	_Z14benchmark_funcPfi   ; -- Begin function _Z14benchmark_funcPfi
	.globl	_Z14benchmark_funcPfi
	.p2align	8
	.type	_Z14benchmark_funcPfi,@function
_Z14benchmark_funcPfi:                  ; @_Z14benchmark_funcPfi
; %bb.0:
	s_load_dword s0, s[4:5], 0x1c
	s_load_dword s1, s[4:5], 0x10
	s_load_dwordx2 s[2:3], s[4:5], 0x0
	s_load_dword s7, s[4:5], 0x8
	v_mov_b32_e32 v6, 0x3dcccccd
	s_waitcnt lgkmcnt(0)
	s_and_b32 s4, s0, 0xffff
	s_mul_i32 s1, s1, s4
	s_lshl_b32 s5, s1, 3
	s_cmp_gt_i32 s7, 0
	s_mul_i32 s6, s6, s4
	s_cselect_b64 s[0:1], -1, 0
	v_lshl_add_u32 v4, s6, 3, v0
	v_cndmask_b32_e64 v0, 0, 1, s[0:1]
	s_mov_b32 s6, 0
	v_mov_b32_e32 v5, s3
	v_cmp_ne_u32_e64 s[0:1], 1, v0
	s_branch .LBB0_2
.LBB0_1:                                ;   in Loop: Header=BB0_2 Depth=1
	s_waitcnt vmcnt(6)
	v_fma_f32 v7, v7, v8, 0
	s_waitcnt vmcnt(4)
	v_fmac_f32_e32 v7, v9, v10
	s_waitcnt vmcnt(2)
	v_fmac_f32_e32 v7, v11, v12
	s_add_i32 s6, s6, 1
	s_waitcnt vmcnt(0)
	v_fmac_f32_e32 v7, v3, v2
	s_cmp_eq_u32 s6, 4
	global_store_dword v[0:1], v7, off
	s_cbranch_scc1 .LBB0_18
.LBB0_2:                                ; =>This Loop Header: Depth=1
                                        ;     Child Loop BB0_3 Depth 2
                                        ;     Child Loop BB0_5 Depth 2
	;; [unrolled: 1-line block ×8, first 2 shown]
	s_mul_i32 s8, s6, s5
	v_add_u32_e32 v2, s8, v4
	v_ashrrev_i32_e32 v3, 31, v2
	v_lshlrev_b64 v[0:1], 2, v[2:3]
	s_mov_b32 s8, s7
	v_add_co_u32_e32 v0, vcc, s2, v0
	v_addc_co_u32_e32 v1, vcc, v5, v1, vcc
	global_load_dword v7, v[0:1], off
	s_and_b64 vcc, exec, s[0:1]
	s_cbranch_vccnz .LBB0_4
.LBB0_3:                                ;   Parent Loop BB0_2 Depth=1
                                        ; =>  This Inner Loop Header: Depth=2
	s_add_i32 s8, s8, -1
	s_cmp_eq_u32 s8, 0
	s_waitcnt vmcnt(0)
	v_fma_f32 v7, v7, v7, v6
	s_cbranch_scc0 .LBB0_3
.LBB0_4:                                ;   in Loop: Header=BB0_2 Depth=1
	v_add_u32_e32 v2, s4, v2
	v_ashrrev_i32_e32 v3, 31, v2
	v_lshlrev_b64 v[8:9], 2, v[2:3]
	v_mov_b32_e32 v3, s3
	v_add_co_u32_e32 v8, vcc, s2, v8
	v_addc_co_u32_e32 v9, vcc, v3, v9, vcc
	global_load_dword v8, v[8:9], off
	s_and_b64 vcc, exec, s[0:1]
	s_mov_b32 s8, s7
	s_cbranch_vccnz .LBB0_6
.LBB0_5:                                ;   Parent Loop BB0_2 Depth=1
                                        ; =>  This Inner Loop Header: Depth=2
	s_add_i32 s8, s8, -1
	s_cmp_lg_u32 s8, 0
	s_waitcnt vmcnt(0)
	v_fma_f32 v8, v8, v8, v6
	s_cbranch_scc1 .LBB0_5
.LBB0_6:                                ;   in Loop: Header=BB0_2 Depth=1
	v_add_u32_e32 v2, s4, v2
	v_ashrrev_i32_e32 v3, 31, v2
	v_lshlrev_b64 v[9:10], 2, v[2:3]
	v_mov_b32_e32 v3, s3
	v_add_co_u32_e32 v9, vcc, s2, v9
	v_addc_co_u32_e32 v10, vcc, v3, v10, vcc
	global_load_dword v9, v[9:10], off
	s_and_b64 vcc, exec, s[0:1]
	s_mov_b32 s8, s7
	s_cbranch_vccnz .LBB0_8
.LBB0_7:                                ;   Parent Loop BB0_2 Depth=1
                                        ; =>  This Inner Loop Header: Depth=2
	s_add_i32 s8, s8, -1
	s_cmp_lg_u32 s8, 0
	s_waitcnt vmcnt(0)
	v_fma_f32 v9, v9, v9, v6
	s_cbranch_scc1 .LBB0_7
.LBB0_8:                                ;   in Loop: Header=BB0_2 Depth=1
	v_add_u32_e32 v2, s4, v2
	v_ashrrev_i32_e32 v3, 31, v2
	v_lshlrev_b64 v[10:11], 2, v[2:3]
	v_mov_b32_e32 v3, s3
	v_add_co_u32_e32 v10, vcc, s2, v10
	v_addc_co_u32_e32 v11, vcc, v3, v11, vcc
	global_load_dword v10, v[10:11], off
	s_and_b64 vcc, exec, s[0:1]
	s_mov_b32 s8, s7
	s_cbranch_vccnz .LBB0_10
.LBB0_9:                                ;   Parent Loop BB0_2 Depth=1
                                        ; =>  This Inner Loop Header: Depth=2
	s_add_i32 s8, s8, -1
	s_cmp_lg_u32 s8, 0
	s_waitcnt vmcnt(0)
	v_fma_f32 v10, v10, v10, v6
	s_cbranch_scc1 .LBB0_9
.LBB0_10:                               ;   in Loop: Header=BB0_2 Depth=1
	v_add_u32_e32 v2, s4, v2
	v_ashrrev_i32_e32 v3, 31, v2
	v_lshlrev_b64 v[11:12], 2, v[2:3]
	v_mov_b32_e32 v3, s3
	v_add_co_u32_e32 v11, vcc, s2, v11
	v_addc_co_u32_e32 v12, vcc, v3, v12, vcc
	global_load_dword v11, v[11:12], off
	s_and_b64 vcc, exec, s[0:1]
	s_mov_b32 s8, s7
	s_cbranch_vccnz .LBB0_12
.LBB0_11:                               ;   Parent Loop BB0_2 Depth=1
                                        ; =>  This Inner Loop Header: Depth=2
	s_add_i32 s8, s8, -1
	s_cmp_lg_u32 s8, 0
	s_waitcnt vmcnt(0)
	v_fma_f32 v11, v11, v11, v6
	s_cbranch_scc1 .LBB0_11
.LBB0_12:                               ;   in Loop: Header=BB0_2 Depth=1
	v_add_u32_e32 v2, s4, v2
	v_ashrrev_i32_e32 v3, 31, v2
	v_lshlrev_b64 v[12:13], 2, v[2:3]
	v_mov_b32_e32 v3, s3
	v_add_co_u32_e32 v12, vcc, s2, v12
	v_addc_co_u32_e32 v13, vcc, v3, v13, vcc
	global_load_dword v12, v[12:13], off
	s_and_b64 vcc, exec, s[0:1]
	s_mov_b32 s8, s7
	s_cbranch_vccnz .LBB0_14
.LBB0_13:                               ;   Parent Loop BB0_2 Depth=1
                                        ; =>  This Inner Loop Header: Depth=2
	s_add_i32 s8, s8, -1
	s_cmp_lg_u32 s8, 0
	s_waitcnt vmcnt(0)
	v_fma_f32 v12, v12, v12, v6
	s_cbranch_scc1 .LBB0_13
.LBB0_14:                               ;   in Loop: Header=BB0_2 Depth=1
	;; [unrolled: 18-line block ×3, first 2 shown]
	v_add_u32_e32 v13, s4, v2
	v_ashrrev_i32_e32 v14, 31, v13
	v_lshlrev_b64 v[13:14], 2, v[13:14]
	v_mov_b32_e32 v2, s3
	v_add_co_u32_e32 v13, vcc, s2, v13
	v_addc_co_u32_e32 v14, vcc, v2, v14, vcc
	global_load_dword v2, v[13:14], off
	s_and_b64 vcc, exec, s[0:1]
	s_mov_b32 s8, s7
	s_cbranch_vccnz .LBB0_1
.LBB0_17:                               ;   Parent Loop BB0_2 Depth=1
                                        ; =>  This Inner Loop Header: Depth=2
	s_add_i32 s8, s8, -1
	s_cmp_lg_u32 s8, 0
	s_waitcnt vmcnt(0)
	v_fma_f32 v2, v2, v2, v6
	s_cbranch_scc1 .LBB0_17
	s_branch .LBB0_1
.LBB0_18:
	s_endpgm
	.section	.rodata,"a",@progbits
	.p2align	6, 0x0
	.amdhsa_kernel _Z14benchmark_funcPfi
		.amdhsa_group_segment_fixed_size 0
		.amdhsa_private_segment_fixed_size 0
		.amdhsa_kernarg_size 272
		.amdhsa_user_sgpr_count 6
		.amdhsa_user_sgpr_private_segment_buffer 1
		.amdhsa_user_sgpr_dispatch_ptr 0
		.amdhsa_user_sgpr_queue_ptr 0
		.amdhsa_user_sgpr_kernarg_segment_ptr 1
		.amdhsa_user_sgpr_dispatch_id 0
		.amdhsa_user_sgpr_flat_scratch_init 0
		.amdhsa_user_sgpr_private_segment_size 0
		.amdhsa_uses_dynamic_stack 0
		.amdhsa_system_sgpr_private_segment_wavefront_offset 0
		.amdhsa_system_sgpr_workgroup_id_x 1
		.amdhsa_system_sgpr_workgroup_id_y 0
		.amdhsa_system_sgpr_workgroup_id_z 0
		.amdhsa_system_sgpr_workgroup_info 0
		.amdhsa_system_vgpr_workitem_id 0
		.amdhsa_next_free_vgpr 15
		.amdhsa_next_free_sgpr 9
		.amdhsa_reserve_vcc 1
		.amdhsa_reserve_flat_scratch 0
		.amdhsa_float_round_mode_32 0
		.amdhsa_float_round_mode_16_64 0
		.amdhsa_float_denorm_mode_32 3
		.amdhsa_float_denorm_mode_16_64 3
		.amdhsa_dx10_clamp 1
		.amdhsa_ieee_mode 1
		.amdhsa_fp16_overflow 0
		.amdhsa_exception_fp_ieee_invalid_op 0
		.amdhsa_exception_fp_denorm_src 0
		.amdhsa_exception_fp_ieee_div_zero 0
		.amdhsa_exception_fp_ieee_overflow 0
		.amdhsa_exception_fp_ieee_underflow 0
		.amdhsa_exception_fp_ieee_inexact 0
		.amdhsa_exception_int_div_zero 0
	.end_amdhsa_kernel
	.text
.Lfunc_end0:
	.size	_Z14benchmark_funcPfi, .Lfunc_end0-_Z14benchmark_funcPfi
                                        ; -- End function
	.set _Z14benchmark_funcPfi.num_vgpr, 15
	.set _Z14benchmark_funcPfi.num_agpr, 0
	.set _Z14benchmark_funcPfi.numbered_sgpr, 9
	.set _Z14benchmark_funcPfi.num_named_barrier, 0
	.set _Z14benchmark_funcPfi.private_seg_size, 0
	.set _Z14benchmark_funcPfi.uses_vcc, 1
	.set _Z14benchmark_funcPfi.uses_flat_scratch, 0
	.set _Z14benchmark_funcPfi.has_dyn_sized_stack, 0
	.set _Z14benchmark_funcPfi.has_recursion, 0
	.set _Z14benchmark_funcPfi.has_indirect_call, 0
	.section	.AMDGPU.csdata,"",@progbits
; Kernel info:
; codeLenInByte = 748
; TotalNumSgprs: 13
; NumVgprs: 15
; ScratchSize: 0
; MemoryBound: 0
; FloatMode: 240
; IeeeMode: 1
; LDSByteSize: 0 bytes/workgroup (compile time only)
; SGPRBlocks: 1
; VGPRBlocks: 3
; NumSGPRsForWavesPerEU: 13
; NumVGPRsForWavesPerEU: 15
; Occupancy: 10
; WaveLimiterHint : 0
; COMPUTE_PGM_RSRC2:SCRATCH_EN: 0
; COMPUTE_PGM_RSRC2:USER_SGPR: 6
; COMPUTE_PGM_RSRC2:TRAP_HANDLER: 0
; COMPUTE_PGM_RSRC2:TGID_X_EN: 1
; COMPUTE_PGM_RSRC2:TGID_Y_EN: 0
; COMPUTE_PGM_RSRC2:TGID_Z_EN: 0
; COMPUTE_PGM_RSRC2:TIDIG_COMP_CNT: 0
	.section	.AMDGPU.gpr_maximums,"",@progbits
	.set amdgpu.max_num_vgpr, 0
	.set amdgpu.max_num_agpr, 0
	.set amdgpu.max_num_sgpr, 0
	.section	.AMDGPU.csdata,"",@progbits
	.type	__hip_cuid_6616d82d756943f5,@object ; @__hip_cuid_6616d82d756943f5
	.section	.bss,"aw",@nobits
	.globl	__hip_cuid_6616d82d756943f5
__hip_cuid_6616d82d756943f5:
	.byte	0                               ; 0x0
	.size	__hip_cuid_6616d82d756943f5, 1

	.ident	"AMD clang version 22.0.0git (https://github.com/RadeonOpenCompute/llvm-project roc-7.2.4 26084 f58b06dce1f9c15707c5f808fd002e18c2accf7e)"
	.section	".note.GNU-stack","",@progbits
	.addrsig
	.addrsig_sym __hip_cuid_6616d82d756943f5
	.amdgpu_metadata
---
amdhsa.kernels:
  - .args:
      - .address_space:  global
        .offset:         0
        .size:           8
        .value_kind:     global_buffer
      - .offset:         8
        .size:           4
        .value_kind:     by_value
      - .offset:         16
        .size:           4
        .value_kind:     hidden_block_count_x
      - .offset:         20
        .size:           4
        .value_kind:     hidden_block_count_y
      - .offset:         24
        .size:           4
        .value_kind:     hidden_block_count_z
      - .offset:         28
        .size:           2
        .value_kind:     hidden_group_size_x
      - .offset:         30
        .size:           2
        .value_kind:     hidden_group_size_y
      - .offset:         32
        .size:           2
        .value_kind:     hidden_group_size_z
      - .offset:         34
        .size:           2
        .value_kind:     hidden_remainder_x
      - .offset:         36
        .size:           2
        .value_kind:     hidden_remainder_y
      - .offset:         38
        .size:           2
        .value_kind:     hidden_remainder_z
      - .offset:         56
        .size:           8
        .value_kind:     hidden_global_offset_x
      - .offset:         64
        .size:           8
        .value_kind:     hidden_global_offset_y
      - .offset:         72
        .size:           8
        .value_kind:     hidden_global_offset_z
      - .offset:         80
        .size:           2
        .value_kind:     hidden_grid_dims
    .group_segment_fixed_size: 0
    .kernarg_segment_align: 8
    .kernarg_segment_size: 272
    .language:       OpenCL C
    .language_version:
      - 2
      - 0
    .max_flat_workgroup_size: 1024
    .name:           _Z14benchmark_funcPfi
    .private_segment_fixed_size: 0
    .sgpr_count:     13
    .sgpr_spill_count: 0
    .symbol:         _Z14benchmark_funcPfi.kd
    .uniform_work_group_size: 1
    .uses_dynamic_stack: false
    .vgpr_count:     15
    .vgpr_spill_count: 0
    .wavefront_size: 64
amdhsa.target:   amdgcn-amd-amdhsa--gfx906
amdhsa.version:
  - 1
  - 2
...

	.end_amdgpu_metadata
